;; amdgpu-corpus repo=ROCm/rocFFT kind=compiled arch=gfx1100 opt=O3
	.text
	.amdgcn_target "amdgcn-amd-amdhsa--gfx1100"
	.amdhsa_code_object_version 6
	.protected	bluestein_single_back_len250_dim1_dp_op_CI_CI ; -- Begin function bluestein_single_back_len250_dim1_dp_op_CI_CI
	.globl	bluestein_single_back_len250_dim1_dp_op_CI_CI
	.p2align	8
	.type	bluestein_single_back_len250_dim1_dp_op_CI_CI,@function
bluestein_single_back_len250_dim1_dp_op_CI_CI: ; @bluestein_single_back_len250_dim1_dp_op_CI_CI
; %bb.0:
	s_load_b128 s[16:19], s[0:1], 0x28
	v_mul_u32_u24_e32 v1, 0xa3e, v0
	s_mov_b32 s2, exec_lo
	s_delay_alu instid0(VALU_DEP_1) | instskip(NEXT) | instid1(VALU_DEP_1)
	v_lshrrev_b32_e32 v1, 16, v1
	v_mad_u64_u32 v[104:105], null, s15, 5, v[1:2]
	v_mov_b32_e32 v105, 0
	s_waitcnt lgkmcnt(0)
	s_delay_alu instid0(VALU_DEP_1)
	v_cmpx_gt_u64_e64 s[16:17], v[104:105]
	s_cbranch_execz .LBB0_2
; %bb.1:
	s_clause 0x1
	s_load_b128 s[4:7], s[0:1], 0x18
	s_load_b128 s[8:11], s[0:1], 0x0
	v_mul_lo_u16 v1, v1, 25
	v_mul_hi_u32 v103, 0xcccccccd, v104
	s_mov_b32 s17, 0xbfee6f0e
	s_mov_b32 s22, 0x9b97f4a8
	;; [unrolled: 1-line block ×3, first 2 shown]
	v_sub_nc_u16 v40, v0, v1
	s_mov_b32 s25, 0xbfd3c6ef
	s_mov_b32 s27, 0xbfe9e377
	;; [unrolled: 1-line block ×3, first 2 shown]
	v_lshrrev_b32_e32 v103, 2, v103
	s_load_b64 s[0:1], s[0:1], 0x38
	s_waitcnt lgkmcnt(0)
	s_load_b128 s[12:15], s[4:5], 0x0
	s_add_u32 s20, s8, 0xfa0
	s_addc_u32 s21, s9, 0
	s_waitcnt lgkmcnt(0)
	v_mad_u64_u32 v[8:9], null, s14, v104, 0
	v_and_b32_e32 v105, 0xffff, v40
	s_mul_i32 s3, s13, 0x190
	s_mul_hi_u32 s4, s12, 0x190
	s_mul_i32 s2, s12, 0x190
	s_add_i32 s3, s4, s3
	s_delay_alu instid0(VALU_DEP_2) | instskip(SKIP_2) | instid1(VALU_DEP_2)
	v_mov_b32_e32 v0, v9
	v_mad_u64_u32 v[10:11], null, s12, v105, 0
	v_lshlrev_b32_e32 v107, 4, v105
	v_mov_b32_e32 v1, v11
	s_delay_alu instid0(VALU_DEP_1) | instskip(SKIP_3) | instid1(VALU_DEP_1)
	v_mad_u64_u32 v[2:3], null, s15, v104, v[0:1]
	s_mov_b32 s14, 0x134454ff
	s_mov_b32 s15, 0x3fee6f0e
	;; [unrolled: 1-line block ×3, first 2 shown]
	v_mov_b32_e32 v9, v2
	v_mad_u64_u32 v[11:12], null, s13, v105, v[1:2]
	s_clause 0x1
	global_load_b128 v[0:3], v107, s[8:9]
	global_load_b128 v[4:7], v107, s[8:9] offset:400
	s_mov_b32 s13, 0xbfe2cf23
	v_lshlrev_b64 v[8:9], 4, v[8:9]
	v_lshlrev_b64 v[10:11], 4, v[10:11]
	s_delay_alu instid0(VALU_DEP_2) | instskip(NEXT) | instid1(VALU_DEP_3)
	v_add_co_u32 v8, vcc_lo, s18, v8
	v_add_co_ci_u32_e32 v9, vcc_lo, s19, v9, vcc_lo
	s_mov_b32 s18, 0x372fe950
	s_delay_alu instid0(VALU_DEP_2) | instskip(NEXT) | instid1(VALU_DEP_2)
	v_add_co_u32 v32, vcc_lo, v8, v10
	v_add_co_ci_u32_e32 v33, vcc_lo, v9, v11, vcc_lo
	s_clause 0x1
	global_load_b128 v[8:11], v107, s[8:9] offset:800
	global_load_b128 v[12:15], v107, s[8:9] offset:1200
	v_add_co_u32 v34, vcc_lo, v32, s2
	v_add_co_ci_u32_e32 v35, vcc_lo, s3, v33, vcc_lo
	s_clause 0x1
	global_load_b128 v[16:19], v107, s[8:9] offset:1600
	global_load_b128 v[20:23], v107, s[8:9] offset:2000
	;; [unrolled: 5-line block ×3, first 2 shown]
	v_add_co_u32 v38, vcc_lo, v36, s2
	v_add_co_ci_u32_e32 v39, vcc_lo, s3, v37, vcc_lo
	global_load_b128 v[41:44], v[32:33], off
	v_add_co_u32 v57, vcc_lo, v38, s2
	v_add_co_ci_u32_e32 v58, vcc_lo, s3, v39, vcc_lo
	s_clause 0x1
	global_load_b128 v[45:48], v[34:35], off
	global_load_b128 v[49:52], v[36:37], off
	v_add_co_u32 v32, vcc_lo, v57, s2
	v_add_co_ci_u32_e32 v33, vcc_lo, s3, v58, vcc_lo
	s_clause 0x1
	global_load_b128 v[53:56], v[38:39], off
	global_load_b128 v[57:60], v[57:58], off
	v_add_co_u32 v34, vcc_lo, v32, s2
	v_add_co_ci_u32_e32 v35, vcc_lo, s3, v33, vcc_lo
	global_load_b128 v[61:64], v[32:33], off
	v_add_co_u32 v36, vcc_lo, v34, s2
	v_add_co_ci_u32_e32 v37, vcc_lo, s3, v35, vcc_lo
	global_load_b128 v[65:68], v[34:35], off
	v_add_co_u32 v32, vcc_lo, v36, s2
	v_add_co_ci_u32_e32 v33, vcc_lo, s3, v37, vcc_lo
	s_mov_b32 s19, 0x3fd3c6ef
	s_delay_alu instid0(VALU_DEP_2) | instskip(NEXT) | instid1(VALU_DEP_2)
	v_add_co_u32 v77, vcc_lo, v32, s2
	v_add_co_ci_u32_e32 v78, vcc_lo, s3, v33, vcc_lo
	global_load_b128 v[69:72], v[36:37], off
	global_load_b128 v[73:76], v[32:33], off
	s_clause 0x1
	global_load_b128 v[32:35], v107, s[8:9] offset:3200
	global_load_b128 v[36:39], v107, s[8:9] offset:3600
	global_load_b128 v[77:80], v[77:78], off
	s_load_b128 s[4:7], s[6:7], 0x0
	s_mov_b32 s2, 0x4755a5e
	s_mov_b32 s3, 0x3fe2cf23
	;; [unrolled: 1-line block ×4, first 2 shown]
	s_waitcnt vmcnt(11)
	v_mul_f64 v[81:82], v[43:44], v[2:3]
	v_mul_f64 v[83:84], v[41:42], v[2:3]
	s_waitcnt vmcnt(10)
	v_mul_f64 v[85:86], v[47:48], v[6:7]
	v_mul_f64 v[87:88], v[45:46], v[6:7]
	;; [unrolled: 3-line block ×10, first 2 shown]
	v_fma_f64 v[41:42], v[41:42], v[0:1], v[81:82]
	v_fma_f64 v[43:44], v[43:44], v[0:1], -v[83:84]
	v_fma_f64 v[45:46], v[45:46], v[4:5], v[85:86]
	v_fma_f64 v[47:48], v[47:48], v[4:5], -v[87:88]
	;; [unrolled: 2-line block ×10, first 2 shown]
	v_lshl_add_u32 v69, v103, 2, v103
	s_delay_alu instid0(VALU_DEP_1) | instskip(NEXT) | instid1(VALU_DEP_1)
	v_sub_nc_u32_e32 v69, v104, v69
	v_mul_u32_u24_e32 v69, 0xfa, v69
	s_delay_alu instid0(VALU_DEP_1) | instskip(NEXT) | instid1(VALU_DEP_1)
	v_lshlrev_b32_e32 v72, 4, v69
	v_add_nc_u32_e32 v106, v107, v72
	ds_store_b128 v106, v[41:44]
	ds_store_b128 v106, v[45:48] offset:400
	ds_store_b128 v106, v[49:52] offset:800
	;; [unrolled: 1-line block ×9, first 2 shown]
	s_waitcnt lgkmcnt(0)
	s_barrier
	buffer_gl0_inv
	ds_load_b128 v[41:44], v106 offset:1200
	ds_load_b128 v[45:48], v106 offset:2000
	;; [unrolled: 1-line block ×5, first 2 shown]
	s_waitcnt lgkmcnt(3)
	v_add_f64 v[112:113], v[41:42], -v[45:46]
	s_waitcnt lgkmcnt(2)
	v_add_f64 v[61:62], v[45:46], v[49:50]
	s_waitcnt lgkmcnt(1)
	v_add_f64 v[63:64], v[43:44], v[55:56]
	v_add_f64 v[65:66], v[41:42], v[53:54]
	;; [unrolled: 1-line block ×3, first 2 shown]
	v_add_f64 v[85:86], v[43:44], -v[55:56]
	v_add_f64 v[87:88], v[47:48], -v[51:52]
	;; [unrolled: 1-line block ×11, first 2 shown]
	s_waitcnt lgkmcnt(0)
	v_add_f64 v[41:42], v[57:58], v[41:42]
	v_add_f64 v[43:44], v[59:60], v[43:44]
	v_fma_f64 v[91:92], v[61:62], -0.5, v[57:58]
	v_fma_f64 v[93:94], v[63:64], -0.5, v[59:60]
	;; [unrolled: 1-line block ×4, first 2 shown]
	ds_load_b128 v[61:64], v106 offset:800
	ds_load_b128 v[65:68], v106 offset:1600
	;; [unrolled: 1-line block ×4, first 2 shown]
	ds_load_b128 v[81:84], v106
	s_waitcnt lgkmcnt(0)
	s_barrier
	buffer_gl0_inv
	v_add_f64 v[41:42], v[41:42], v[45:46]
	v_add_f64 v[43:44], v[43:44], v[47:48]
	;; [unrolled: 1-line block ×8, first 2 shown]
	v_add_f64 v[138:139], v[63:64], -v[79:80]
	v_add_f64 v[140:141], v[67:68], -v[75:76]
	;; [unrolled: 1-line block ×4, first 2 shown]
	v_fma_f64 v[126:127], v[85:86], s[14:15], v[91:92]
	v_fma_f64 v[128:129], v[89:90], s[14:15], v[93:94]
	;; [unrolled: 1-line block ×8, first 2 shown]
	v_add_f64 v[41:42], v[41:42], v[49:50]
	v_add_f64 v[43:44], v[43:44], v[51:52]
	v_fma_f64 v[57:58], v[99:100], -0.5, v[81:82]
	v_fma_f64 v[81:82], v[101:102], -0.5, v[81:82]
	;; [unrolled: 1-line block ×4, first 2 shown]
	v_add_f64 v[101:102], v[112:113], v[114:115]
	v_add_f64 v[108:109], v[116:117], v[118:119]
	;; [unrolled: 1-line block ×3, first 2 shown]
	v_add_f64 v[122:123], v[63:64], -v[67:68]
	v_add_f64 v[63:64], v[67:68], -v[63:64]
	v_add_f64 v[67:68], v[142:143], v[67:68]
	v_add_f64 v[118:119], v[77:78], -v[73:74]
	v_add_f64 v[120:121], v[73:74], -v[77:78]
	v_fma_f64 v[112:113], v[87:88], s[2:3], v[126:127]
	v_fma_f64 v[114:115], v[97:98], s[12:13], v[128:129]
	;; [unrolled: 1-line block ×6, first 2 shown]
	v_add_f64 v[91:92], v[124:125], v[132:133]
	v_fma_f64 v[95:96], v[89:90], s[2:3], v[134:135]
	v_add_f64 v[97:98], v[61:62], -v[65:66]
	v_add_f64 v[61:62], v[65:66], -v[61:62]
	v_add_f64 v[65:66], v[136:137], v[65:66]
	v_add_f64 v[124:125], v[79:80], -v[75:76]
	v_add_f64 v[126:127], v[75:76], -v[79:80]
	v_fma_f64 v[69:70], v[89:90], s[12:13], v[69:70]
	v_add_f64 v[53:54], v[41:42], v[53:54]
	v_add_f64 v[55:56], v[43:44], v[55:56]
	v_and_b32_e32 v41, 0xff, v40
	s_delay_alu instid0(VALU_DEP_1)
	v_mul_lo_u16 v41, 0xcd, v41
	v_fma_f64 v[45:46], v[138:139], s[14:15], v[57:58]
	v_fma_f64 v[47:48], v[138:139], s[16:17], v[57:58]
	;; [unrolled: 1-line block ×8, first 2 shown]
	v_add_f64 v[67:68], v[67:68], v[75:76]
	v_fma_f64 v[89:90], v[101:102], s[18:19], v[112:113]
	v_fma_f64 v[112:113], v[110:111], s[18:19], v[114:115]
	;; [unrolled: 1-line block ×7, first 2 shown]
	v_add_f64 v[97:98], v[97:98], v[118:119]
	v_add_f64 v[61:62], v[61:62], v[120:121]
	;; [unrolled: 1-line block ×5, first 2 shown]
	v_fma_f64 v[69:70], v[91:92], s[18:19], v[69:70]
	v_fma_f64 v[45:46], v[140:141], s[2:3], v[45:46]
	;; [unrolled: 1-line block ×9, first 2 shown]
	v_add_f64 v[67:68], v[67:68], v[79:80]
	v_lshrrev_b16 v79, 11, v41
	v_add_co_u32 v80, null, v105, 25
	v_mul_f64 v[81:82], v[89:90], s[22:23]
	v_mul_f64 v[89:90], v[89:90], s[12:13]
	;; [unrolled: 1-line block ×8, first 2 shown]
	v_and_b32_e32 v71, 0xff, v80
	v_add_f64 v[65:66], v[65:66], v[77:78]
	v_fma_f64 v[77:78], v[97:98], s[18:19], v[45:46]
	v_fma_f64 v[97:98], v[97:98], s[18:19], v[47:48]
	;; [unrolled: 1-line block ×8, first 2 shown]
	v_add_f64 v[43:44], v[67:68], v[55:56]
	v_add_f64 v[47:48], v[67:68], -v[55:56]
	v_fma_f64 v[73:74], v[69:70], s[2:3], v[81:82]
	v_fma_f64 v[69:70], v[69:70], s[22:23], v[89:90]
	;; [unrolled: 1-line block ×8, first 2 shown]
	v_add_f64 v[41:42], v[65:66], v[53:54]
	v_add_f64 v[45:46], v[65:66], -v[53:54]
	v_add_f64 v[49:50], v[77:78], v[73:74]
	v_add_f64 v[51:52], v[122:123], v[69:70]
	;; [unrolled: 1-line block ×8, first 2 shown]
	v_add_f64 v[65:66], v[77:78], -v[73:74]
	v_add_f64 v[67:68], v[122:123], -v[69:70]
	;; [unrolled: 1-line block ×8, first 2 shown]
	v_mul_lo_u16 v69, v79, 10
	v_mul_lo_u16 v70, 0xcd, v71
	s_delay_alu instid0(VALU_DEP_2) | instskip(NEXT) | instid1(VALU_DEP_2)
	v_sub_nc_u16 v103, v40, v69
	v_lshrrev_b16 v185, 11, v70
	v_mul_lo_u16 v40, v40, 10
	s_delay_alu instid0(VALU_DEP_3) | instskip(NEXT) | instid1(VALU_DEP_3)
	v_lshlrev_b16 v69, 2, v103
	v_mul_lo_u16 v70, v185, 10
	s_delay_alu instid0(VALU_DEP_3) | instskip(NEXT) | instid1(VALU_DEP_3)
	v_and_b32_e32 v40, 0xffff, v40
	v_and_b32_e32 v69, 0xfc, v69
	s_delay_alu instid0(VALU_DEP_3) | instskip(NEXT) | instid1(VALU_DEP_3)
	v_sub_nc_u16 v70, v80, v70
	v_lshl_add_u32 v108, v40, 4, v72
	ds_store_b128 v108, v[41:44]
	ds_store_b128 v108, v[49:52] offset:16
	ds_store_b128 v108, v[53:56] offset:32
	;; [unrolled: 1-line block ×9, first 2 shown]
	v_lshlrev_b32_e32 v69, 4, v69
	v_and_b32_e32 v186, 0xff, v70
	s_waitcnt lgkmcnt(0)
	s_barrier
	buffer_gl0_inv
	s_clause 0x2
	global_load_b128 v[52:55], v69, s[10:11]
	global_load_b128 v[44:47], v69, s[10:11] offset:16
	global_load_b128 v[40:43], v69, s[10:11] offset:32
	v_lshlrev_b32_e32 v60, 6, v186
	s_clause 0x4
	global_load_b128 v[48:51], v69, s[10:11] offset:48
	global_load_b128 v[56:59], v60, s[10:11]
	global_load_b128 v[68:71], v60, s[10:11] offset:16
	global_load_b128 v[64:67], v60, s[10:11] offset:32
	;; [unrolled: 1-line block ×3, first 2 shown]
	ds_load_b128 v[73:76], v106 offset:800
	ds_load_b128 v[81:84], v106 offset:1600
	;; [unrolled: 1-line block ×8, first 2 shown]
	s_waitcnt vmcnt(7) lgkmcnt(7)
	v_mul_f64 v[119:120], v[73:74], v[54:55]
	s_waitcnt vmcnt(6) lgkmcnt(6)
	v_mul_f64 v[101:102], v[83:84], v[46:47]
	;; [unrolled: 2-line block ×3, first 2 shown]
	v_mul_f64 v[123:124], v[81:82], v[46:47]
	v_mul_f64 v[125:126], v[85:86], v[42:43]
	;; [unrolled: 1-line block ×3, first 2 shown]
	s_waitcnt vmcnt(4) lgkmcnt(4)
	v_mul_f64 v[121:122], v[91:92], v[50:51]
	v_mul_f64 v[127:128], v[89:90], v[50:51]
	s_waitcnt vmcnt(2) lgkmcnt(2)
	v_mul_f64 v[131:132], v[99:100], v[70:71]
	s_waitcnt vmcnt(1) lgkmcnt(1)
	v_mul_f64 v[133:134], v[111:112], v[66:67]
	v_mul_f64 v[135:136], v[97:98], v[70:71]
	;; [unrolled: 1-line block ×4, first 2 shown]
	s_waitcnt vmcnt(0) lgkmcnt(0)
	v_mul_f64 v[137:138], v[115:116], v[62:63]
	v_mul_f64 v[141:142], v[93:94], v[58:59]
	;; [unrolled: 1-line block ×3, first 2 shown]
	v_fma_f64 v[101:102], v[81:82], v[44:45], -v[101:102]
	v_fma_f64 v[85:86], v[85:86], v[40:41], -v[117:118]
	v_fma_f64 v[117:118], v[75:76], v[52:53], v[119:120]
	v_fma_f64 v[119:120], v[83:84], v[44:45], v[123:124]
	;; [unrolled: 1-line block ×3, first 2 shown]
	v_fma_f64 v[77:78], v[73:74], v[52:53], -v[77:78]
	v_fma_f64 v[89:90], v[89:90], v[48:49], -v[121:122]
	v_fma_f64 v[91:92], v[91:92], v[48:49], v[127:128]
	v_fma_f64 v[97:98], v[97:98], v[68:69], -v[131:132]
	v_fma_f64 v[109:110], v[109:110], v[64:65], -v[133:134]
	v_fma_f64 v[99:100], v[99:100], v[68:69], v[135:136]
	v_fma_f64 v[111:112], v[111:112], v[64:65], v[139:140]
	v_fma_f64 v[93:94], v[93:94], v[56:57], -v[129:130]
	v_fma_f64 v[113:114], v[113:114], v[60:61], -v[137:138]
	v_fma_f64 v[95:96], v[95:96], v[56:57], v[141:142]
	v_fma_f64 v[115:116], v[115:116], v[60:61], v[143:144]
	ds_load_b128 v[73:76], v106
	ds_load_b128 v[81:84], v106 offset:400
	s_waitcnt lgkmcnt(0)
	s_barrier
	buffer_gl0_inv
	v_add_f64 v[121:122], v[101:102], v[85:86]
	v_add_f64 v[143:144], v[75:76], v[117:118]
	v_add_f64 v[159:160], v[117:118], -v[119:120]
	v_add_f64 v[125:126], v[119:120], v[87:88]
	v_add_f64 v[137:138], v[73:74], v[77:78]
	;; [unrolled: 1-line block ×4, first 2 shown]
	v_add_f64 v[139:140], v[117:118], -v[91:92]
	v_add_f64 v[129:130], v[97:98], v[109:110]
	v_add_f64 v[149:150], v[77:78], -v[89:90]
	v_add_f64 v[133:134], v[99:100], v[111:112]
	v_add_f64 v[145:146], v[81:82], v[93:94]
	;; [unrolled: 1-line block ×5, first 2 shown]
	v_add_f64 v[141:142], v[119:120], -v[87:88]
	v_add_f64 v[151:152], v[95:96], -v[115:116]
	v_add_f64 v[153:154], v[93:94], -v[113:114]
	v_add_f64 v[117:118], v[119:120], -v[117:118]
	v_add_f64 v[155:156], v[89:90], -v[85:86]
	v_add_f64 v[161:162], v[91:92], -v[87:88]
	v_add_f64 v[163:164], v[87:88], -v[91:92]
	v_add_f64 v[165:166], v[93:94], -v[97:98]
	v_add_f64 v[93:94], v[97:98], -v[93:94]
	v_add_f64 v[169:170], v[109:110], -v[113:114]
	v_add_f64 v[171:172], v[95:96], -v[99:100]
	v_add_f64 v[95:96], v[99:100], -v[95:96]
	v_add_f64 v[175:176], v[111:112], -v[115:116]
	v_add_f64 v[157:158], v[85:86], -v[89:90]
	v_add_f64 v[167:168], v[113:114], -v[109:110]
	v_add_f64 v[173:174], v[115:116], -v[111:112]
	v_fma_f64 v[121:122], v[121:122], -0.5, v[73:74]
	v_add_f64 v[119:120], v[143:144], v[119:120]
	v_fma_f64 v[125:126], v[125:126], -0.5, v[75:76]
	v_fma_f64 v[73:74], v[123:124], -0.5, v[73:74]
	v_add_f64 v[123:124], v[101:102], -v[85:86]
	v_fma_f64 v[75:76], v[127:128], -0.5, v[75:76]
	v_fma_f64 v[129:130], v[129:130], -0.5, v[81:82]
	v_add_f64 v[127:128], v[99:100], -v[111:112]
	;; [unrolled: 3-line block ×3, first 2 shown]
	v_fma_f64 v[83:84], v[135:136], -0.5, v[83:84]
	v_add_f64 v[135:136], v[77:78], -v[101:102]
	v_add_f64 v[77:78], v[101:102], -v[77:78]
	v_add_f64 v[101:102], v[137:138], v[101:102]
	v_add_f64 v[97:98], v[145:146], v[97:98]
	;; [unrolled: 1-line block ×5, first 2 shown]
	v_fma_f64 v[137:138], v[139:140], s[14:15], v[121:122]
	v_fma_f64 v[121:122], v[139:140], s[16:17], v[121:122]
	v_add_f64 v[87:88], v[119:120], v[87:88]
	v_fma_f64 v[145:146], v[149:150], s[16:17], v[125:126]
	v_fma_f64 v[125:126], v[149:150], s[14:15], v[125:126]
	;; [unrolled: 1-line block ×14, first 2 shown]
	v_add_f64 v[85:86], v[101:102], v[85:86]
	v_add_f64 v[135:136], v[135:136], v[155:156]
	v_add_f64 v[155:156], v[159:160], v[161:162]
	v_add_f64 v[159:160], v[93:94], v[169:170]
	v_add_f64 v[93:94], v[97:98], v[109:110]
	v_add_f64 v[95:96], v[99:100], v[111:112]
	v_add_f64 v[77:78], v[77:78], v[157:158]
	v_add_f64 v[157:158], v[165:166], v[167:168]
	v_add_f64 v[161:162], v[171:172], v[173:174]
	v_fma_f64 v[97:98], v[141:142], s[2:3], v[137:138]
	v_fma_f64 v[99:100], v[141:142], s[12:13], v[121:122]
	;; [unrolled: 1-line block ×16, first 2 shown]
	v_add_f64 v[73:74], v[85:86], v[89:90]
	v_add_f64 v[75:76], v[87:88], v[91:92]
	;; [unrolled: 1-line block ×4, first 2 shown]
	v_fma_f64 v[85:86], v[135:136], s[18:19], v[97:98]
	v_fma_f64 v[89:90], v[135:136], s[18:19], v[99:100]
	;; [unrolled: 1-line block ×16, first 2 shown]
	v_and_b32_e32 v77, 0xffff, v185
	v_mad_u16 v78, v79, 50, v103
	v_lshlrev_b32_e32 v101, 6, v105
	s_delay_alu instid0(VALU_DEP_3) | instskip(NEXT) | instid1(VALU_DEP_3)
	v_mul_u32_u24_e32 v77, 50, v77
	v_and_b32_e32 v78, 0xff, v78
	s_delay_alu instid0(VALU_DEP_2) | instskip(NEXT) | instid1(VALU_DEP_2)
	v_add_nc_u32_e32 v77, v77, v186
	v_lshl_add_u32 v110, v78, 4, v72
	s_delay_alu instid0(VALU_DEP_2)
	v_lshl_add_u32 v109, v77, 4, v72
	ds_store_b128 v110, v[73:76]
	ds_store_b128 v110, v[85:88] offset:160
	ds_store_b128 v110, v[93:96] offset:320
	ds_store_b128 v110, v[97:100] offset:480
	ds_store_b128 v110, v[89:92] offset:640
	ds_store_b128 v109, v[81:84]
	ds_store_b128 v109, v[111:114] offset:160
	ds_store_b128 v109, v[119:122] offset:320
	;; [unrolled: 1-line block ×4, first 2 shown]
	v_lshlrev_b32_e32 v92, 6, v80
	s_waitcnt lgkmcnt(0)
	s_barrier
	buffer_gl0_inv
	s_clause 0x7
	global_load_b128 v[76:79], v101, s[10:11] offset:640
	global_load_b128 v[72:75], v101, s[10:11] offset:656
	;; [unrolled: 1-line block ×8, first 2 shown]
	ds_load_b128 v[111:114], v106 offset:800
	ds_load_b128 v[115:118], v106 offset:1600
	;; [unrolled: 1-line block ×8, first 2 shown]
	s_waitcnt vmcnt(5) lgkmcnt(5)
	v_mul_f64 v[151:152], v[121:122], v[86:87]
	v_mul_f64 v[153:154], v[119:120], v[86:87]
	s_waitcnt vmcnt(4) lgkmcnt(4)
	v_mul_f64 v[155:156], v[125:126], v[82:83]
	v_mul_f64 v[143:144], v[113:114], v[78:79]
	;; [unrolled: 1-line block ×4, first 2 shown]
	s_waitcnt vmcnt(2) lgkmcnt(2)
	v_mul_f64 v[161:162], v[133:134], v[102:103]
	v_mul_f64 v[163:164], v[131:132], v[102:103]
	s_waitcnt vmcnt(1) lgkmcnt(1)
	v_mul_f64 v[165:166], v[137:138], v[98:99]
	v_mul_f64 v[169:170], v[135:136], v[98:99]
	v_mul_f64 v[145:146], v[111:112], v[78:79]
	v_mul_f64 v[157:158], v[123:124], v[82:83]
	v_mul_f64 v[159:160], v[129:130], v[90:91]
	s_waitcnt vmcnt(0) lgkmcnt(0)
	v_mul_f64 v[167:168], v[141:142], v[94:95]
	v_mul_f64 v[171:172], v[127:128], v[90:91]
	;; [unrolled: 1-line block ×3, first 2 shown]
	v_fma_f64 v[119:120], v[119:120], v[84:85], -v[151:152]
	v_fma_f64 v[121:122], v[121:122], v[84:85], v[153:154]
	v_fma_f64 v[123:124], v[123:124], v[80:81], -v[155:156]
	v_fma_f64 v[143:144], v[111:112], v[76:77], -v[143:144]
	;; [unrolled: 1-line block ×3, first 2 shown]
	v_fma_f64 v[149:150], v[117:118], v[72:73], v[149:150]
	v_fma_f64 v[131:132], v[131:132], v[100:101], -v[161:162]
	v_fma_f64 v[133:134], v[133:134], v[100:101], v[163:164]
	v_fma_f64 v[135:136], v[135:136], v[96:97], -v[165:166]
	v_fma_f64 v[137:138], v[137:138], v[96:97], v[169:170]
	v_fma_f64 v[145:146], v[113:114], v[76:77], v[145:146]
	;; [unrolled: 1-line block ×3, first 2 shown]
	v_fma_f64 v[127:128], v[127:128], v[88:89], -v[159:160]
	v_fma_f64 v[139:140], v[139:140], v[92:93], -v[167:168]
	v_fma_f64 v[129:130], v[129:130], v[88:89], v[171:172]
	v_fma_f64 v[141:142], v[141:142], v[92:93], v[173:174]
	ds_load_b128 v[111:114], v106
	ds_load_b128 v[115:118], v106 offset:400
	v_add_f64 v[187:188], v[119:120], -v[123:124]
	v_add_f64 v[153:154], v[143:144], v[123:124]
	v_add_f64 v[151:152], v[147:148], v[119:120]
	;; [unrolled: 1-line block ×3, first 2 shown]
	s_waitcnt lgkmcnt(1)
	v_add_f64 v[167:168], v[111:112], v[143:144]
	v_add_f64 v[175:176], v[143:144], -v[123:124]
	v_add_f64 v[159:160], v[131:132], v[135:136]
	v_add_f64 v[163:164], v[133:134], v[137:138]
	;; [unrolled: 1-line block ×4, first 2 shown]
	s_waitcnt lgkmcnt(0)
	v_add_f64 v[179:180], v[115:116], v[127:128]
	v_add_f64 v[161:162], v[127:128], v[139:140]
	;; [unrolled: 1-line block ×4, first 2 shown]
	v_add_f64 v[169:170], v[145:146], -v[125:126]
	v_add_f64 v[171:172], v[149:150], -v[121:122]
	;; [unrolled: 1-line block ×17, first 2 shown]
	v_fma_f64 v[151:152], v[151:152], -0.5, v[111:112]
	v_fma_f64 v[155:156], v[155:156], -0.5, v[113:114]
	;; [unrolled: 1-line block ×3, first 2 shown]
	v_add_f64 v[153:154], v[133:134], -v[137:138]
	v_fma_f64 v[159:160], v[159:160], -0.5, v[115:116]
	v_fma_f64 v[163:164], v[163:164], -0.5, v[117:118]
	v_add_f64 v[149:150], v[173:174], v[149:150]
	v_fma_f64 v[113:114], v[157:158], -0.5, v[113:114]
	v_add_f64 v[157:158], v[131:132], -v[135:136]
	v_fma_f64 v[115:116], v[161:162], -0.5, v[115:116]
	v_add_f64 v[161:162], v[143:144], -v[147:148]
	;; [unrolled: 2-line block ×3, first 2 shown]
	v_add_f64 v[147:148], v[167:168], v[147:148]
	v_add_f64 v[165:166], v[123:124], -v[119:120]
	v_add_f64 v[131:132], v[179:180], v[131:132]
	v_add_f64 v[133:134], v[181:182], v[133:134]
	v_add_f64 v[145:146], v[145:146], v[193:194]
	v_add_f64 v[193:194], v[129:130], v[205:206]
	v_fma_f64 v[167:168], v[169:170], s[14:15], v[151:152]
	v_fma_f64 v[179:180], v[175:176], s[16:17], v[155:156]
	;; [unrolled: 1-line block ×16, first 2 shown]
	v_add_f64 v[119:120], v[147:148], v[119:120]
	v_add_f64 v[121:122], v[149:150], v[121:122]
	;; [unrolled: 1-line block ×10, first 2 shown]
	v_fma_f64 v[131:132], v[171:172], s[2:3], v[167:168]
	v_fma_f64 v[147:148], v[177:178], s[12:13], v[179:180]
	;; [unrolled: 1-line block ×16, first 2 shown]
	v_add_f64 v[111:112], v[119:120], v[123:124]
	v_add_f64 v[113:114], v[121:122], v[125:126]
	;; [unrolled: 1-line block ×4, first 2 shown]
	v_fma_f64 v[119:120], v[161:162], s[18:19], v[131:132]
	v_fma_f64 v[121:122], v[165:166], s[18:19], v[147:148]
	;; [unrolled: 1-line block ×16, first 2 shown]
	ds_store_b128 v106, v[111:114]
	ds_store_b128 v106, v[115:118] offset:400
	ds_store_b128 v106, v[119:122] offset:800
	;; [unrolled: 1-line block ×9, first 2 shown]
	s_waitcnt lgkmcnt(0)
	s_barrier
	buffer_gl0_inv
	s_clause 0x9
	global_load_b128 v[111:114], v107, s[8:9] offset:4000
	global_load_b128 v[115:118], v107, s[20:21] offset:400
	;; [unrolled: 1-line block ×10, first 2 shown]
	ds_load_b128 v[151:154], v106
	ds_load_b128 v[155:158], v106 offset:400
	ds_load_b128 v[159:162], v106 offset:800
	;; [unrolled: 1-line block ×9, first 2 shown]
	s_waitcnt vmcnt(9) lgkmcnt(9)
	v_mul_f64 v[191:192], v[153:154], v[113:114]
	v_mul_f64 v[113:114], v[151:152], v[113:114]
	s_waitcnt vmcnt(8) lgkmcnt(8)
	v_mul_f64 v[193:194], v[157:158], v[117:118]
	v_mul_f64 v[117:118], v[155:156], v[117:118]
	s_waitcnt vmcnt(7) lgkmcnt(7)
	v_mul_f64 v[195:196], v[161:162], v[121:122]
	v_mul_f64 v[121:122], v[159:160], v[121:122]
	s_waitcnt vmcnt(6) lgkmcnt(6)
	v_mul_f64 v[197:198], v[165:166], v[125:126]
	v_mul_f64 v[125:126], v[163:164], v[125:126]
	s_waitcnt vmcnt(5) lgkmcnt(5)
	v_mul_f64 v[199:200], v[169:170], v[129:130]
	v_mul_f64 v[129:130], v[167:168], v[129:130]
	s_waitcnt vmcnt(4) lgkmcnt(4)
	v_mul_f64 v[201:202], v[173:174], v[133:134]
	v_mul_f64 v[133:134], v[171:172], v[133:134]
	s_waitcnt vmcnt(3) lgkmcnt(3)
	v_mul_f64 v[203:204], v[177:178], v[137:138]
	v_mul_f64 v[137:138], v[175:176], v[137:138]
	s_waitcnt vmcnt(2) lgkmcnt(2)
	v_mul_f64 v[205:206], v[181:182], v[141:142]
	v_mul_f64 v[141:142], v[179:180], v[141:142]
	s_waitcnt vmcnt(1) lgkmcnt(1)
	v_mul_f64 v[207:208], v[185:186], v[145:146]
	v_mul_f64 v[145:146], v[183:184], v[145:146]
	s_waitcnt vmcnt(0) lgkmcnt(0)
	v_mul_f64 v[209:210], v[189:190], v[149:150]
	v_mul_f64 v[211:212], v[187:188], v[149:150]
	v_fma_f64 v[149:150], v[151:152], v[111:112], -v[191:192]
	v_fma_f64 v[151:152], v[153:154], v[111:112], v[113:114]
	v_fma_f64 v[111:112], v[155:156], v[115:116], -v[193:194]
	v_fma_f64 v[113:114], v[157:158], v[115:116], v[117:118]
	v_fma_f64 v[115:116], v[159:160], v[119:120], -v[195:196]
	v_fma_f64 v[117:118], v[161:162], v[119:120], v[121:122]
	v_fma_f64 v[119:120], v[163:164], v[123:124], -v[197:198]
	v_fma_f64 v[121:122], v[165:166], v[123:124], v[125:126]
	v_fma_f64 v[123:124], v[167:168], v[127:128], -v[199:200]
	v_fma_f64 v[125:126], v[169:170], v[127:128], v[129:130]
	v_fma_f64 v[127:128], v[171:172], v[131:132], -v[201:202]
	v_fma_f64 v[129:130], v[173:174], v[131:132], v[133:134]
	v_fma_f64 v[131:132], v[175:176], v[135:136], -v[203:204]
	v_fma_f64 v[133:134], v[177:178], v[135:136], v[137:138]
	v_fma_f64 v[135:136], v[179:180], v[139:140], -v[205:206]
	v_fma_f64 v[137:138], v[181:182], v[139:140], v[141:142]
	v_fma_f64 v[139:140], v[183:184], v[143:144], -v[207:208]
	v_fma_f64 v[141:142], v[185:186], v[143:144], v[145:146]
	v_fma_f64 v[143:144], v[187:188], v[147:148], -v[209:210]
	v_fma_f64 v[145:146], v[189:190], v[147:148], v[211:212]
	ds_store_b128 v106, v[149:152]
	ds_store_b128 v106, v[111:114] offset:400
	ds_store_b128 v106, v[115:118] offset:800
	;; [unrolled: 1-line block ×9, first 2 shown]
	s_waitcnt lgkmcnt(0)
	s_barrier
	buffer_gl0_inv
	ds_load_b128 v[111:114], v106 offset:1200
	ds_load_b128 v[115:118], v106 offset:2000
	;; [unrolled: 1-line block ×6, first 2 shown]
	s_waitcnt lgkmcnt(4)
	v_add_f64 v[173:174], v[111:112], -v[115:116]
	s_waitcnt lgkmcnt(3)
	v_add_f64 v[135:136], v[117:118], v[121:122]
	v_add_f64 v[139:140], v[115:116], v[119:120]
	s_waitcnt lgkmcnt(2)
	v_add_f64 v[137:138], v[113:114], v[125:126]
	v_add_f64 v[151:152], v[111:112], v[123:124]
	v_add_f64 v[153:154], v[111:112], -v[123:124]
	v_add_f64 v[161:162], v[113:114], -v[125:126]
	;; [unrolled: 1-line block ×9, first 2 shown]
	s_waitcnt lgkmcnt(1)
	v_add_f64 v[113:114], v[129:130], v[113:114]
	v_add_f64 v[203:204], v[119:120], -v[123:124]
	v_fma_f64 v[157:158], v[135:136], -0.5, v[129:130]
	v_fma_f64 v[163:164], v[139:140], -0.5, v[127:128]
	v_fma_f64 v[159:160], v[137:138], -0.5, v[129:130]
	ds_load_b128 v[135:138], v106 offset:1600
	ds_load_b128 v[139:142], v106 offset:2400
	;; [unrolled: 1-line block ×3, first 2 shown]
	ds_load_b128 v[147:150], v106
	v_fma_f64 v[151:152], v[151:152], -0.5, v[127:128]
	v_add_f64 v[127:128], v[127:128], v[111:112]
	v_add_f64 v[111:112], v[115:116], -v[111:112]
	s_waitcnt lgkmcnt(0)
	s_barrier
	buffer_gl0_inv
	v_add_f64 v[113:114], v[113:114], v[117:118]
	v_add_f64 v[165:166], v[135:136], v[139:140]
	;; [unrolled: 1-line block ×7, first 2 shown]
	v_add_f64 v[195:196], v[133:134], -v[145:146]
	v_add_f64 v[197:198], v[137:138], -v[141:142]
	;; [unrolled: 1-line block ×3, first 2 shown]
	v_fma_f64 v[187:188], v[153:154], s[14:15], v[157:158]
	v_fma_f64 v[157:158], v[153:154], s[16:17], v[157:158]
	v_fma_f64 v[191:192], v[161:162], s[16:17], v[163:164]
	v_fma_f64 v[189:190], v[155:156], s[16:17], v[159:160]
	v_fma_f64 v[159:160], v[155:156], s[14:15], v[159:160]
	v_fma_f64 v[163:164], v[161:162], s[14:15], v[163:164]
	v_add_f64 v[115:116], v[127:128], v[115:116]
	v_add_f64 v[111:112], v[111:112], v[203:204]
	v_add_f64 v[113:114], v[113:114], v[121:122]
	v_fma_f64 v[129:130], v[165:166], -0.5, v[147:148]
	v_add_f64 v[165:166], v[135:136], -v[139:140]
	v_fma_f64 v[147:148], v[167:168], -0.5, v[147:148]
	v_fma_f64 v[167:168], v[169:170], -0.5, v[149:150]
	;; [unrolled: 1-line block ×3, first 2 shown]
	v_add_f64 v[169:170], v[173:174], v[175:176]
	v_add_f64 v[171:172], v[177:178], v[179:180]
	v_fma_f64 v[175:176], v[185:186], s[14:15], v[151:152]
	v_fma_f64 v[151:152], v[185:186], s[16:17], v[151:152]
	v_add_f64 v[173:174], v[181:182], v[183:184]
	v_add_f64 v[181:182], v[143:144], -v[139:140]
	v_add_f64 v[183:184], v[139:140], -v[143:144]
	v_fma_f64 v[177:178], v[155:156], s[2:3], v[187:188]
	v_fma_f64 v[155:156], v[155:156], s[12:13], v[157:158]
	;; [unrolled: 1-line block ×5, first 2 shown]
	v_add_f64 v[159:160], v[131:132], -v[135:136]
	v_add_f64 v[131:132], v[135:136], -v[131:132]
	;; [unrolled: 1-line block ×4, first 2 shown]
	v_add_f64 v[135:136], v[193:194], v[135:136]
	v_add_f64 v[137:138], v[199:200], v[137:138]
	v_add_f64 v[189:190], v[145:146], -v[141:142]
	v_fma_f64 v[163:164], v[185:186], s[2:3], v[163:164]
	v_add_f64 v[191:192], v[141:142], -v[145:146]
	v_add_f64 v[115:116], v[115:116], v[119:120]
	v_fma_f64 v[117:118], v[195:196], s[16:17], v[129:130]
	v_fma_f64 v[127:128], v[195:196], s[14:15], v[129:130]
	;; [unrolled: 1-line block ×15, first 2 shown]
	v_add_f64 v[159:160], v[159:160], v[181:182]
	v_add_f64 v[131:132], v[131:132], v[183:184]
	;; [unrolled: 1-line block ×8, first 2 shown]
	v_fma_f64 v[117:118], v[197:198], s[12:13], v[117:118]
	v_fma_f64 v[119:120], v[197:198], s[2:3], v[127:128]
	;; [unrolled: 1-line block ×11, first 2 shown]
	v_mul_f64 v[151:152], v[161:162], s[12:13]
	v_mul_f64 v[169:170], v[155:156], s[12:13]
	;; [unrolled: 1-line block ×8, first 2 shown]
	v_add_f64 v[135:136], v[135:136], v[143:144]
	v_add_f64 v[137:138], v[137:138], v[145:146]
	v_fma_f64 v[143:144], v[159:160], s[18:19], v[117:118]
	v_fma_f64 v[145:146], v[159:160], s[18:19], v[119:120]
	;; [unrolled: 1-line block ×16, first 2 shown]
	v_add_f64 v[111:112], v[135:136], v[115:116]
	v_add_f64 v[113:114], v[137:138], v[123:124]
	v_add_f64 v[117:118], v[137:138], -v[123:124]
	v_add_f64 v[115:116], v[135:136], -v[115:116]
	v_add_f64 v[119:120], v[143:144], v[139:140]
	v_add_f64 v[131:132], v[145:146], v[157:158]
	;; [unrolled: 1-line block ×8, first 2 shown]
	v_add_f64 v[135:136], v[143:144], -v[139:140]
	v_add_f64 v[137:138], v[179:180], -v[161:162]
	;; [unrolled: 1-line block ×8, first 2 shown]
	ds_store_b128 v108, v[111:114]
	ds_store_b128 v108, v[119:122] offset:16
	ds_store_b128 v108, v[123:126] offset:32
	;; [unrolled: 1-line block ×9, first 2 shown]
	s_waitcnt lgkmcnt(0)
	s_barrier
	buffer_gl0_inv
	ds_load_b128 v[111:114], v106 offset:800
	ds_load_b128 v[115:118], v106 offset:1600
	;; [unrolled: 1-line block ×8, first 2 shown]
	s_waitcnt lgkmcnt(7)
	v_mul_f64 v[107:108], v[54:55], v[113:114]
	s_waitcnt lgkmcnt(6)
	v_mul_f64 v[143:144], v[46:47], v[117:118]
	;; [unrolled: 2-line block ×3, first 2 shown]
	v_mul_f64 v[54:55], v[54:55], v[111:112]
	v_mul_f64 v[46:47], v[46:47], v[115:116]
	;; [unrolled: 1-line block ×3, first 2 shown]
	s_waitcnt lgkmcnt(4)
	v_mul_f64 v[147:148], v[50:51], v[125:126]
	v_mul_f64 v[50:51], v[50:51], v[123:124]
	s_waitcnt lgkmcnt(2)
	v_mul_f64 v[151:152], v[70:71], v[133:134]
	s_waitcnt lgkmcnt(1)
	v_mul_f64 v[153:154], v[66:67], v[137:138]
	v_mul_f64 v[70:71], v[70:71], v[131:132]
	;; [unrolled: 1-line block ×4, first 2 shown]
	s_waitcnt lgkmcnt(0)
	v_mul_f64 v[155:156], v[62:63], v[141:142]
	v_mul_f64 v[58:59], v[58:59], v[127:128]
	;; [unrolled: 1-line block ×3, first 2 shown]
	v_fma_f64 v[107:108], v[52:53], v[111:112], v[107:108]
	v_fma_f64 v[111:112], v[44:45], v[115:116], v[143:144]
	;; [unrolled: 1-line block ×3, first 2 shown]
	v_fma_f64 v[52:53], v[52:53], v[113:114], -v[54:55]
	v_fma_f64 v[113:114], v[44:45], v[117:118], -v[46:47]
	;; [unrolled: 1-line block ×3, first 2 shown]
	v_fma_f64 v[54:55], v[48:49], v[123:124], v[147:148]
	v_fma_f64 v[48:49], v[48:49], v[125:126], -v[50:51]
	v_fma_f64 v[119:120], v[68:69], v[131:132], v[151:152]
	v_fma_f64 v[121:122], v[64:65], v[135:136], v[153:154]
	v_fma_f64 v[68:69], v[68:69], v[133:134], -v[70:71]
	v_fma_f64 v[64:65], v[64:65], v[137:138], -v[66:67]
	v_fma_f64 v[50:51], v[56:57], v[127:128], v[149:150]
	v_fma_f64 v[70:71], v[60:61], v[139:140], v[155:156]
	v_fma_f64 v[56:57], v[56:57], v[129:130], -v[58:59]
	v_fma_f64 v[58:59], v[60:61], v[141:142], -v[62:63]
	ds_load_b128 v[40:43], v106
	ds_load_b128 v[44:47], v106 offset:400
	s_waitcnt lgkmcnt(0)
	s_barrier
	buffer_gl0_inv
	v_add_f64 v[133:134], v[40:41], v[107:108]
	v_add_f64 v[60:61], v[111:112], v[115:116]
	;; [unrolled: 1-line block ×3, first 2 shown]
	v_add_f64 v[155:156], v[52:53], -v[113:114]
	v_add_f64 v[66:67], v[113:114], v[117:118]
	v_add_f64 v[62:63], v[107:108], v[54:55]
	;; [unrolled: 1-line block ×3, first 2 shown]
	v_add_f64 v[135:136], v[52:53], -v[48:49]
	v_add_f64 v[125:126], v[119:120], v[121:122]
	v_add_f64 v[145:146], v[107:108], -v[54:55]
	v_add_f64 v[129:130], v[68:69], v[64:65]
	v_add_f64 v[141:142], v[44:45], v[50:51]
	;; [unrolled: 1-line block ×5, first 2 shown]
	v_add_f64 v[137:138], v[113:114], -v[117:118]
	v_add_f64 v[147:148], v[56:57], -v[58:59]
	;; [unrolled: 1-line block ×16, first 2 shown]
	v_fma_f64 v[60:61], v[60:61], -0.5, v[40:41]
	v_add_f64 v[113:114], v[139:140], v[113:114]
	v_fma_f64 v[66:67], v[66:67], -0.5, v[42:43]
	v_fma_f64 v[40:41], v[62:63], -0.5, v[40:41]
	v_add_f64 v[62:63], v[111:112], -v[115:116]
	v_fma_f64 v[42:43], v[123:124], -0.5, v[42:43]
	v_fma_f64 v[125:126], v[125:126], -0.5, v[44:45]
	v_add_f64 v[123:124], v[68:69], -v[64:65]
	;; [unrolled: 3-line block ×3, first 2 shown]
	v_fma_f64 v[46:47], v[131:132], -0.5, v[46:47]
	v_add_f64 v[131:132], v[107:108], -v[111:112]
	v_add_f64 v[107:108], v[111:112], -v[107:108]
	v_add_f64 v[111:112], v[133:134], v[111:112]
	v_add_f64 v[119:120], v[141:142], v[119:120]
	;; [unrolled: 1-line block ×3, first 2 shown]
	v_fma_f64 v[133:134], v[135:136], s[16:17], v[60:61]
	v_fma_f64 v[60:61], v[135:136], s[14:15], v[60:61]
	;; [unrolled: 1-line block ×16, first 2 shown]
	v_add_f64 v[131:132], v[131:132], v[151:152]
	v_add_f64 v[107:108], v[107:108], v[153:154]
	;; [unrolled: 1-line block ×12, first 2 shown]
	v_fma_f64 v[68:69], v[137:138], s[12:13], v[133:134]
	v_fma_f64 v[60:61], v[137:138], s[2:3], v[60:61]
	;; [unrolled: 1-line block ×16, first 2 shown]
	v_add_f64 v[40:41], v[50:51], v[54:55]
	v_add_f64 v[42:43], v[52:53], v[48:49]
	;; [unrolled: 1-line block ×4, first 2 shown]
	v_fma_f64 v[48:49], v[131:132], s[18:19], v[68:69]
	v_fma_f64 v[52:53], v[131:132], s[18:19], v[60:61]
	;; [unrolled: 1-line block ×16, first 2 shown]
	ds_store_b128 v110, v[40:43]
	ds_store_b128 v110, v[48:51] offset:160
	ds_store_b128 v110, v[56:59] offset:320
	;; [unrolled: 1-line block ×4, first 2 shown]
	ds_store_b128 v109, v[44:47]
	ds_store_b128 v109, v[64:67] offset:160
	ds_store_b128 v109, v[111:114] offset:320
	;; [unrolled: 1-line block ×4, first 2 shown]
	s_waitcnt lgkmcnt(0)
	s_barrier
	buffer_gl0_inv
	ds_load_b128 v[40:43], v106 offset:800
	ds_load_b128 v[44:47], v106 offset:1600
	;; [unrolled: 1-line block ×8, first 2 shown]
	s_waitcnt lgkmcnt(7)
	v_mul_f64 v[107:108], v[78:79], v[42:43]
	v_mul_f64 v[78:79], v[78:79], v[40:41]
	s_waitcnt lgkmcnt(6)
	v_mul_f64 v[109:110], v[74:75], v[46:47]
	v_mul_f64 v[74:75], v[74:75], v[44:45]
	;; [unrolled: 3-line block ×3, first 2 shown]
	s_waitcnt lgkmcnt(4)
	v_mul_f64 v[113:114], v[82:83], v[54:55]
	s_waitcnt lgkmcnt(2)
	v_mul_f64 v[117:118], v[102:103], v[62:63]
	v_mul_f64 v[102:103], v[102:103], v[60:61]
	s_waitcnt lgkmcnt(1)
	v_mul_f64 v[119:120], v[98:99], v[66:67]
	v_mul_f64 v[98:99], v[98:99], v[64:65]
	;; [unrolled: 1-line block ×4, first 2 shown]
	s_waitcnt lgkmcnt(0)
	v_mul_f64 v[121:122], v[94:95], v[70:71]
	v_mul_f64 v[90:91], v[90:91], v[56:57]
	;; [unrolled: 1-line block ×3, first 2 shown]
	v_fma_f64 v[107:108], v[76:77], v[40:41], v[107:108]
	v_fma_f64 v[76:77], v[76:77], v[42:43], -v[78:79]
	v_fma_f64 v[78:79], v[72:73], v[44:45], v[109:110]
	v_fma_f64 v[72:73], v[72:73], v[46:47], -v[74:75]
	;; [unrolled: 2-line block ×3, first 2 shown]
	v_fma_f64 v[52:53], v[80:81], v[52:53], v[113:114]
	v_fma_f64 v[60:61], v[100:101], v[60:61], v[117:118]
	v_fma_f64 v[62:63], v[100:101], v[62:63], -v[102:103]
	v_fma_f64 v[64:65], v[96:97], v[64:65], v[119:120]
	v_fma_f64 v[66:67], v[96:97], v[66:67], -v[98:99]
	v_fma_f64 v[54:55], v[80:81], v[54:55], -v[82:83]
	v_fma_f64 v[56:57], v[88:89], v[56:57], v[115:116]
	v_fma_f64 v[68:69], v[92:93], v[68:69], v[121:122]
	v_fma_f64 v[58:59], v[88:89], v[58:59], -v[90:91]
	v_fma_f64 v[70:71], v[92:93], v[70:71], -v[94:95]
	ds_load_b128 v[40:43], v106
	ds_load_b128 v[44:47], v106 offset:400
	s_waitcnt lgkmcnt(1)
	v_add_f64 v[94:95], v[40:41], v[107:108]
	v_add_f64 v[100:101], v[42:43], v[76:77]
	v_add_f64 v[121:122], v[76:77], -v[72:73]
	v_add_f64 v[74:75], v[78:79], v[48:49]
	v_add_f64 v[82:83], v[72:73], v[50:51]
	;; [unrolled: 1-line block ×3, first 2 shown]
	v_add_f64 v[102:103], v[107:108], -v[52:53]
	v_add_f64 v[98:99], v[72:73], -v[50:51]
	v_add_f64 v[86:87], v[60:61], v[64:65]
	v_add_f64 v[90:91], v[62:63], v[66:67]
	;; [unrolled: 1-line block ×3, first 2 shown]
	s_waitcnt lgkmcnt(0)
	v_add_f64 v[111:112], v[44:45], v[56:57]
	v_add_f64 v[88:89], v[56:57], v[68:69]
	;; [unrolled: 1-line block ×4, first 2 shown]
	v_add_f64 v[96:97], v[76:77], -v[54:55]
	v_add_f64 v[115:116], v[58:59], -v[70:71]
	;; [unrolled: 1-line block ×16, first 2 shown]
	v_add_f64 v[72:73], v[100:101], v[72:73]
	v_fma_f64 v[74:75], v[74:75], -0.5, v[40:41]
	v_fma_f64 v[82:83], v[82:83], -0.5, v[42:43]
	;; [unrolled: 1-line block ×3, first 2 shown]
	v_add_f64 v[80:81], v[62:63], -v[66:67]
	v_fma_f64 v[86:87], v[86:87], -0.5, v[44:45]
	v_fma_f64 v[90:91], v[90:91], -0.5, v[46:47]
	v_fma_f64 v[42:43], v[84:85], -0.5, v[42:43]
	v_add_f64 v[84:85], v[60:61], -v[64:65]
	v_fma_f64 v[44:45], v[88:89], -0.5, v[44:45]
	v_add_f64 v[88:89], v[107:108], -v[78:79]
	v_fma_f64 v[46:47], v[92:93], -0.5, v[46:47]
	v_add_f64 v[107:108], v[78:79], -v[107:108]
	v_add_f64 v[78:79], v[94:95], v[78:79]
	v_add_f64 v[92:93], v[52:53], -v[48:49]
	v_add_f64 v[60:61], v[111:112], v[60:61]
	v_add_f64 v[62:63], v[113:114], v[62:63]
	;; [unrolled: 1-line block ×5, first 2 shown]
	v_fma_f64 v[94:95], v[96:97], s[16:17], v[74:75]
	v_fma_f64 v[111:112], v[102:103], s[14:15], v[82:83]
	;; [unrolled: 1-line block ×16, first 2 shown]
	v_add_f64 v[48:49], v[78:79], v[48:49]
	v_add_f64 v[88:89], v[88:89], v[92:93]
	;; [unrolled: 1-line block ×9, first 2 shown]
	v_fma_f64 v[60:61], v[98:99], s[12:13], v[94:95]
	v_fma_f64 v[72:73], v[109:110], s[2:3], v[111:112]
	;; [unrolled: 1-line block ×16, first 2 shown]
	v_add_f64 v[40:41], v[48:49], v[52:53]
	v_add_f64 v[42:43], v[50:51], v[54:55]
	s_mul_i32 s2, s5, 0x190
	s_mul_hi_u32 s3, s4, 0x190
	v_add_f64 v[44:45], v[56:57], v[68:69]
	v_add_f64 v[46:47], v[58:59], v[70:71]
	s_add_i32 s3, s3, s2
	v_fma_f64 v[48:49], v[88:89], s[18:19], v[60:61]
	v_fma_f64 v[50:51], v[107:108], s[18:19], v[72:73]
	;; [unrolled: 1-line block ×16, first 2 shown]
	ds_store_b128 v106, v[40:43]
	ds_store_b128 v106, v[44:47] offset:400
	ds_store_b128 v106, v[48:51] offset:800
	;; [unrolled: 1-line block ×9, first 2 shown]
	s_waitcnt lgkmcnt(0)
	s_barrier
	buffer_gl0_inv
	ds_load_b128 v[40:43], v106
	ds_load_b128 v[44:47], v106 offset:400
	ds_load_b128 v[48:51], v106 offset:800
	;; [unrolled: 1-line block ×9, first 2 shown]
	v_mad_u64_u32 v[80:81], null, s6, v104, 0
	v_mad_u64_u32 v[82:83], null, s4, v105, 0
	s_mulk_i32 s4, 0x190
	s_delay_alu instid0(VALU_DEP_1)
	v_mad_u64_u32 v[84:85], null, s7, v104, v[81:82]
	s_waitcnt lgkmcnt(9)
	v_mul_f64 v[85:86], v[2:3], v[42:43]
	v_mul_f64 v[2:3], v[2:3], v[40:41]
	s_waitcnt lgkmcnt(8)
	v_mul_f64 v[87:88], v[6:7], v[46:47]
	v_mul_f64 v[6:7], v[6:7], v[44:45]
	;; [unrolled: 3-line block ×10, first 2 shown]
	v_mad_u64_u32 v[106:107], null, s5, v105, v[83:84]
	v_mov_b32_e32 v81, v84
	s_delay_alu instid0(VALU_DEP_1) | instskip(NEXT) | instid1(VALU_DEP_3)
	v_lshlrev_b64 v[80:81], 4, v[80:81]
	v_mov_b32_e32 v83, v106
	s_delay_alu instid0(VALU_DEP_1) | instskip(NEXT) | instid1(VALU_DEP_3)
	v_lshlrev_b64 v[82:83], 4, v[82:83]
	v_add_co_u32 v80, vcc_lo, s0, v80
	s_delay_alu instid0(VALU_DEP_4)
	v_add_co_ci_u32_e32 v81, vcc_lo, s1, v81, vcc_lo
	v_fma_f64 v[40:41], v[0:1], v[40:41], v[85:86]
	v_fma_f64 v[2:3], v[0:1], v[42:43], -v[2:3]
	v_fma_f64 v[42:43], v[4:5], v[44:45], v[87:88]
	v_fma_f64 v[6:7], v[4:5], v[46:47], -v[6:7]
	;; [unrolled: 2-line block ×10, first 2 shown]
	v_add_co_u32 v60, vcc_lo, v80, v82
	v_add_co_ci_u32_e32 v61, vcc_lo, v81, v83, vcc_lo
	s_mov_b32 s0, 0xd2f1a9fc
	s_delay_alu instid0(VALU_DEP_2) | instskip(NEXT) | instid1(VALU_DEP_2)
	v_add_co_u32 v62, vcc_lo, v60, s4
	v_add_co_ci_u32_e32 v63, vcc_lo, s3, v61, vcc_lo
	s_mov_b32 s1, 0x3f70624d
	s_delay_alu instid0(VALU_DEP_2) | instskip(NEXT) | instid1(VALU_DEP_2)
	v_add_co_u32 v64, vcc_lo, v62, s4
	v_add_co_ci_u32_e32 v65, vcc_lo, s3, v63, vcc_lo
	s_delay_alu instid0(VALU_DEP_2) | instskip(NEXT) | instid1(VALU_DEP_2)
	v_add_co_u32 v66, vcc_lo, v64, s4
	v_add_co_ci_u32_e32 v67, vcc_lo, s3, v65, vcc_lo
	v_mul_f64 v[0:1], v[40:41], s[0:1]
	v_mul_f64 v[2:3], v[2:3], s[0:1]
	;; [unrolled: 1-line block ×20, first 2 shown]
	v_add_co_u32 v40, vcc_lo, v66, s4
	v_add_co_ci_u32_e32 v41, vcc_lo, s3, v67, vcc_lo
	s_delay_alu instid0(VALU_DEP_2) | instskip(NEXT) | instid1(VALU_DEP_2)
	v_add_co_u32 v42, vcc_lo, v40, s4
	v_add_co_ci_u32_e32 v43, vcc_lo, s3, v41, vcc_lo
	s_delay_alu instid0(VALU_DEP_2) | instskip(NEXT) | instid1(VALU_DEP_2)
	;; [unrolled: 3-line block ×5, first 2 shown]
	v_add_co_u32 v50, vcc_lo, v48, s4
	v_add_co_ci_u32_e32 v51, vcc_lo, s3, v49, vcc_lo
	s_clause 0x4
	global_store_b128 v[60:61], v[0:3], off
	global_store_b128 v[62:63], v[4:7], off
	global_store_b128 v[64:65], v[8:11], off
	global_store_b128 v[66:67], v[12:15], off
	global_store_b128 v[40:41], v[16:19], off
	global_store_b128 v[42:43], v[20:23], off
	global_store_b128 v[44:45], v[24:27], off
	global_store_b128 v[46:47], v[28:31], off
	global_store_b128 v[48:49], v[32:35], off
	global_store_b128 v[50:51], v[36:39], off
.LBB0_2:
	s_nop 0
	s_sendmsg sendmsg(MSG_DEALLOC_VGPRS)
	s_endpgm
	.section	.rodata,"a",@progbits
	.p2align	6, 0x0
	.amdhsa_kernel bluestein_single_back_len250_dim1_dp_op_CI_CI
		.amdhsa_group_segment_fixed_size 20000
		.amdhsa_private_segment_fixed_size 0
		.amdhsa_kernarg_size 104
		.amdhsa_user_sgpr_count 15
		.amdhsa_user_sgpr_dispatch_ptr 0
		.amdhsa_user_sgpr_queue_ptr 0
		.amdhsa_user_sgpr_kernarg_segment_ptr 1
		.amdhsa_user_sgpr_dispatch_id 0
		.amdhsa_user_sgpr_private_segment_size 0
		.amdhsa_wavefront_size32 1
		.amdhsa_uses_dynamic_stack 0
		.amdhsa_enable_private_segment 0
		.amdhsa_system_sgpr_workgroup_id_x 1
		.amdhsa_system_sgpr_workgroup_id_y 0
		.amdhsa_system_sgpr_workgroup_id_z 0
		.amdhsa_system_sgpr_workgroup_info 0
		.amdhsa_system_vgpr_workitem_id 0
		.amdhsa_next_free_vgpr 215
		.amdhsa_next_free_sgpr 28
		.amdhsa_reserve_vcc 1
		.amdhsa_float_round_mode_32 0
		.amdhsa_float_round_mode_16_64 0
		.amdhsa_float_denorm_mode_32 3
		.amdhsa_float_denorm_mode_16_64 3
		.amdhsa_dx10_clamp 1
		.amdhsa_ieee_mode 1
		.amdhsa_fp16_overflow 0
		.amdhsa_workgroup_processor_mode 1
		.amdhsa_memory_ordered 1
		.amdhsa_forward_progress 0
		.amdhsa_shared_vgpr_count 0
		.amdhsa_exception_fp_ieee_invalid_op 0
		.amdhsa_exception_fp_denorm_src 0
		.amdhsa_exception_fp_ieee_div_zero 0
		.amdhsa_exception_fp_ieee_overflow 0
		.amdhsa_exception_fp_ieee_underflow 0
		.amdhsa_exception_fp_ieee_inexact 0
		.amdhsa_exception_int_div_zero 0
	.end_amdhsa_kernel
	.text
.Lfunc_end0:
	.size	bluestein_single_back_len250_dim1_dp_op_CI_CI, .Lfunc_end0-bluestein_single_back_len250_dim1_dp_op_CI_CI
                                        ; -- End function
	.section	.AMDGPU.csdata,"",@progbits
; Kernel info:
; codeLenInByte = 11420
; NumSgprs: 30
; NumVgprs: 215
; ScratchSize: 0
; MemoryBound: 0
; FloatMode: 240
; IeeeMode: 1
; LDSByteSize: 20000 bytes/workgroup (compile time only)
; SGPRBlocks: 3
; VGPRBlocks: 26
; NumSGPRsForWavesPerEU: 30
; NumVGPRsForWavesPerEU: 215
; Occupancy: 6
; WaveLimiterHint : 1
; COMPUTE_PGM_RSRC2:SCRATCH_EN: 0
; COMPUTE_PGM_RSRC2:USER_SGPR: 15
; COMPUTE_PGM_RSRC2:TRAP_HANDLER: 0
; COMPUTE_PGM_RSRC2:TGID_X_EN: 1
; COMPUTE_PGM_RSRC2:TGID_Y_EN: 0
; COMPUTE_PGM_RSRC2:TGID_Z_EN: 0
; COMPUTE_PGM_RSRC2:TIDIG_COMP_CNT: 0
	.text
	.p2alignl 7, 3214868480
	.fill 96, 4, 3214868480
	.type	__hip_cuid_36640e53c1a0f497,@object ; @__hip_cuid_36640e53c1a0f497
	.section	.bss,"aw",@nobits
	.globl	__hip_cuid_36640e53c1a0f497
__hip_cuid_36640e53c1a0f497:
	.byte	0                               ; 0x0
	.size	__hip_cuid_36640e53c1a0f497, 1

	.ident	"AMD clang version 19.0.0git (https://github.com/RadeonOpenCompute/llvm-project roc-6.4.0 25133 c7fe45cf4b819c5991fe208aaa96edf142730f1d)"
	.section	".note.GNU-stack","",@progbits
	.addrsig
	.addrsig_sym __hip_cuid_36640e53c1a0f497
	.amdgpu_metadata
---
amdhsa.kernels:
  - .args:
      - .actual_access:  read_only
        .address_space:  global
        .offset:         0
        .size:           8
        .value_kind:     global_buffer
      - .actual_access:  read_only
        .address_space:  global
        .offset:         8
        .size:           8
        .value_kind:     global_buffer
      - .actual_access:  read_only
        .address_space:  global
        .offset:         16
        .size:           8
        .value_kind:     global_buffer
      - .actual_access:  read_only
        .address_space:  global
        .offset:         24
        .size:           8
        .value_kind:     global_buffer
      - .actual_access:  read_only
        .address_space:  global
        .offset:         32
        .size:           8
        .value_kind:     global_buffer
      - .offset:         40
        .size:           8
        .value_kind:     by_value
      - .address_space:  global
        .offset:         48
        .size:           8
        .value_kind:     global_buffer
      - .address_space:  global
        .offset:         56
        .size:           8
        .value_kind:     global_buffer
      - .address_space:  global
        .offset:         64
        .size:           8
        .value_kind:     global_buffer
      - .address_space:  global
        .offset:         72
        .size:           8
        .value_kind:     global_buffer
      - .offset:         80
        .size:           4
        .value_kind:     by_value
      - .address_space:  global
        .offset:         88
        .size:           8
        .value_kind:     global_buffer
      - .address_space:  global
        .offset:         96
        .size:           8
        .value_kind:     global_buffer
    .group_segment_fixed_size: 20000
    .kernarg_segment_align: 8
    .kernarg_segment_size: 104
    .language:       OpenCL C
    .language_version:
      - 2
      - 0
    .max_flat_workgroup_size: 125
    .name:           bluestein_single_back_len250_dim1_dp_op_CI_CI
    .private_segment_fixed_size: 0
    .sgpr_count:     30
    .sgpr_spill_count: 0
    .symbol:         bluestein_single_back_len250_dim1_dp_op_CI_CI.kd
    .uniform_work_group_size: 1
    .uses_dynamic_stack: false
    .vgpr_count:     215
    .vgpr_spill_count: 0
    .wavefront_size: 32
    .workgroup_processor_mode: 1
amdhsa.target:   amdgcn-amd-amdhsa--gfx1100
amdhsa.version:
  - 1
  - 2
...

	.end_amdgpu_metadata
